;; amdgpu-corpus repo=amd/amd-lab-notes kind=compiled arch=gfx1030 opt=O3
	.amdgcn_target "amdgcn-amd-amdhsa--gfx1030"
	.amdhsa_code_object_version 6
	.section	.text._Z20test_function_kernelIfEvPT_iiiS0_S0_S0_,"axG",@progbits,_Z20test_function_kernelIfEvPT_iiiS0_S0_S0_,comdat
	.protected	_Z20test_function_kernelIfEvPT_iiiS0_S0_S0_ ; -- Begin function _Z20test_function_kernelIfEvPT_iiiS0_S0_S0_
	.globl	_Z20test_function_kernelIfEvPT_iiiS0_S0_S0_
	.p2align	8
	.type	_Z20test_function_kernelIfEvPT_iiiS0_S0_S0_,@function
_Z20test_function_kernelIfEvPT_iiiS0_S0_S0_: ; @_Z20test_function_kernelIfEvPT_iiiS0_S0_S0_
; %bb.0:
	s_clause 0x1
	s_load_dwordx2 s[0:1], s[4:5], 0x2c
	s_load_dwordx4 s[12:15], s[4:5], 0x8
	s_waitcnt lgkmcnt(0)
	s_lshr_b32 s2, s0, 16
	s_and_b32 s0, s0, 0xffff
	s_and_b32 s1, s1, 0xffff
	v_mad_u64_u32 v[3:4], null, s6, s0, v[0:1]
	v_mad_u64_u32 v[4:5], null, s7, s2, v[1:2]
	;; [unrolled: 1-line block ×3, first 2 shown]
	v_cmp_gt_i32_e32 vcc_lo, s12, v3
	v_cmp_gt_i32_e64 s0, s13, v4
	s_and_b32 s0, vcc_lo, s0
	v_cmp_gt_i32_e64 s1, s14, v0
	s_and_b32 s0, s0, s1
	s_and_saveexec_b32 s1, s0
	s_cbranch_execz .LBB0_2
; %bb.1:
	s_clause 0x1
	s_load_dwordx2 s[0:1], s[4:5], 0x18
	s_load_dwordx2 s[2:3], s[4:5], 0x0
	v_cvt_f32_i32_e32 v5, v4
	v_cvt_f32_i32_e32 v7, s13
	;; [unrolled: 1-line block ×3, first 2 shown]
	v_mad_u64_u32 v[1:2], null, v0, s13, v[4:5]
	v_cvt_f32_i32_e32 v4, v0
	v_cvt_f32_i32_e32 v2, v3
	v_mul_f32_e32 v2, s15, v2
	v_mad_u64_u32 v[0:1], null, v1, s12, v[3:4]
	s_waitcnt lgkmcnt(0)
	v_mul_f32_e32 v5, s0, v5
	v_mul_f32_e32 v4, s1, v4
	v_mul_f32_e32 v1, 0.5, v5
	v_fma_f32 v3, -s0, v7, v5
	v_cvt_f32_i32_e32 v5, s14
	v_mul_f32_e32 v7, 0.5, v2
	v_fma_f32 v2, -s15, v6, v2
	v_mul_f32_e32 v6, 0.5, v4
	v_mul_f32_e32 v3, v1, v3
	v_ashrrev_i32_e32 v1, 31, v0
	v_fma_f32 v4, -s1, v5, v4
	v_fmac_f32_e32 v3, v7, v2
	v_lshlrev_b64 v[0:1], 2, v[0:1]
	v_fmac_f32_e32 v3, v6, v4
	v_add_co_u32 v0, vcc_lo, s2, v0
	v_add_co_ci_u32_e64 v1, null, s3, v1, vcc_lo
	global_store_dword v[0:1], v3, off
.LBB0_2:
	s_endpgm
	.section	.rodata,"a",@progbits
	.p2align	6, 0x0
	.amdhsa_kernel _Z20test_function_kernelIfEvPT_iiiS0_S0_S0_
		.amdhsa_group_segment_fixed_size 0
		.amdhsa_private_segment_fixed_size 0
		.amdhsa_kernarg_size 288
		.amdhsa_user_sgpr_count 6
		.amdhsa_user_sgpr_private_segment_buffer 1
		.amdhsa_user_sgpr_dispatch_ptr 0
		.amdhsa_user_sgpr_queue_ptr 0
		.amdhsa_user_sgpr_kernarg_segment_ptr 1
		.amdhsa_user_sgpr_dispatch_id 0
		.amdhsa_user_sgpr_flat_scratch_init 0
		.amdhsa_user_sgpr_private_segment_size 0
		.amdhsa_wavefront_size32 1
		.amdhsa_uses_dynamic_stack 0
		.amdhsa_system_sgpr_private_segment_wavefront_offset 0
		.amdhsa_system_sgpr_workgroup_id_x 1
		.amdhsa_system_sgpr_workgroup_id_y 1
		.amdhsa_system_sgpr_workgroup_id_z 1
		.amdhsa_system_sgpr_workgroup_info 0
		.amdhsa_system_vgpr_workitem_id 2
		.amdhsa_next_free_vgpr 8
		.amdhsa_next_free_sgpr 16
		.amdhsa_reserve_vcc 1
		.amdhsa_reserve_flat_scratch 0
		.amdhsa_float_round_mode_32 0
		.amdhsa_float_round_mode_16_64 0
		.amdhsa_float_denorm_mode_32 3
		.amdhsa_float_denorm_mode_16_64 3
		.amdhsa_dx10_clamp 1
		.amdhsa_ieee_mode 1
		.amdhsa_fp16_overflow 0
		.amdhsa_workgroup_processor_mode 1
		.amdhsa_memory_ordered 1
		.amdhsa_forward_progress 1
		.amdhsa_shared_vgpr_count 0
		.amdhsa_exception_fp_ieee_invalid_op 0
		.amdhsa_exception_fp_denorm_src 0
		.amdhsa_exception_fp_ieee_div_zero 0
		.amdhsa_exception_fp_ieee_overflow 0
		.amdhsa_exception_fp_ieee_underflow 0
		.amdhsa_exception_fp_ieee_inexact 0
		.amdhsa_exception_int_div_zero 0
	.end_amdhsa_kernel
	.section	.text._Z20test_function_kernelIfEvPT_iiiS0_S0_S0_,"axG",@progbits,_Z20test_function_kernelIfEvPT_iiiS0_S0_S0_,comdat
.Lfunc_end0:
	.size	_Z20test_function_kernelIfEvPT_iiiS0_S0_S0_, .Lfunc_end0-_Z20test_function_kernelIfEvPT_iiiS0_S0_S0_
                                        ; -- End function
	.set _Z20test_function_kernelIfEvPT_iiiS0_S0_S0_.num_vgpr, 8
	.set _Z20test_function_kernelIfEvPT_iiiS0_S0_S0_.num_agpr, 0
	.set _Z20test_function_kernelIfEvPT_iiiS0_S0_S0_.numbered_sgpr, 16
	.set _Z20test_function_kernelIfEvPT_iiiS0_S0_S0_.num_named_barrier, 0
	.set _Z20test_function_kernelIfEvPT_iiiS0_S0_S0_.private_seg_size, 0
	.set _Z20test_function_kernelIfEvPT_iiiS0_S0_S0_.uses_vcc, 1
	.set _Z20test_function_kernelIfEvPT_iiiS0_S0_S0_.uses_flat_scratch, 0
	.set _Z20test_function_kernelIfEvPT_iiiS0_S0_S0_.has_dyn_sized_stack, 0
	.set _Z20test_function_kernelIfEvPT_iiiS0_S0_S0_.has_recursion, 0
	.set _Z20test_function_kernelIfEvPT_iiiS0_S0_S0_.has_indirect_call, 0
	.section	.AMDGPU.csdata,"",@progbits
; Kernel info:
; codeLenInByte = 268
; TotalNumSgprs: 18
; NumVgprs: 8
; ScratchSize: 0
; MemoryBound: 0
; FloatMode: 240
; IeeeMode: 1
; LDSByteSize: 0 bytes/workgroup (compile time only)
; SGPRBlocks: 0
; VGPRBlocks: 0
; NumSGPRsForWavesPerEU: 18
; NumVGPRsForWavesPerEU: 8
; Occupancy: 16
; WaveLimiterHint : 0
; COMPUTE_PGM_RSRC2:SCRATCH_EN: 0
; COMPUTE_PGM_RSRC2:USER_SGPR: 6
; COMPUTE_PGM_RSRC2:TRAP_HANDLER: 0
; COMPUTE_PGM_RSRC2:TGID_X_EN: 1
; COMPUTE_PGM_RSRC2:TGID_Y_EN: 1
; COMPUTE_PGM_RSRC2:TGID_Z_EN: 1
; COMPUTE_PGM_RSRC2:TIDIG_COMP_CNT: 2
	.section	.text._Z16laplacian_kernelIfEvPT_PKS0_iiiS0_S0_S0_S0_,"axG",@progbits,_Z16laplacian_kernelIfEvPT_PKS0_iiiS0_S0_S0_S0_,comdat
	.protected	_Z16laplacian_kernelIfEvPT_PKS0_iiiS0_S0_S0_S0_ ; -- Begin function _Z16laplacian_kernelIfEvPT_PKS0_iiiS0_S0_S0_S0_
	.globl	_Z16laplacian_kernelIfEvPT_PKS0_iiiS0_S0_S0_S0_
	.p2align	8
	.type	_Z16laplacian_kernelIfEvPT_PKS0_iiiS0_S0_S0_S0_,@function
_Z16laplacian_kernelIfEvPT_PKS0_iiiS0_S0_S0_S0_: ; @_Z16laplacian_kernelIfEvPT_PKS0_iiiS0_S0_S0_S0_
; %bb.0:
	s_load_dword s0, s[4:5], 0x3c
	s_waitcnt lgkmcnt(0)
	s_and_b32 s1, s0, 0xffff
	v_mad_u64_u32 v[3:4], null, s6, s1, v[0:1]
	s_mov_b32 s1, exec_lo
	v_cmpx_ne_u32_e32 0, v3
	s_cbranch_execz .LBB1_4
; %bb.1:
	s_clause 0x1
	s_load_dwordx4 s[12:15], s[4:5], 0x10
	s_load_dword s1, s[4:5], 0x40
	s_lshr_b32 s0, s0, 16
	v_mad_u64_u32 v[0:1], null, s7, s0, v[1:2]
	s_waitcnt lgkmcnt(0)
	s_add_i32 s0, s12, -1
	s_and_b32 s1, s1, 0xffff
	v_cmp_gt_i32_e32 vcc_lo, s0, v3
	v_cmp_ne_u32_e64 s0, 0, v0
	s_and_b32 s0, vcc_lo, s0
	s_and_b32 exec_lo, exec_lo, s0
	s_cbranch_execz .LBB1_4
; %bb.2:
	s_load_dwordx4 s[16:19], s[4:5], 0x20
	s_and_b32 s0, s1, 0xffff
	s_add_i32 s1, s14, -1
	v_mad_u64_u32 v[1:2], null, s8, s0, v[2:3]
	s_add_i32 s0, s13, -1
	v_cmp_gt_i32_e32 vcc_lo, s0, v0
	v_cmp_gt_i32_e64 s0, s1, v1
	v_cmp_ne_u32_e64 s1, 0, v1
	s_and_b32 s0, vcc_lo, s0
	s_and_b32 s0, s0, s1
	s_and_b32 exec_lo, exec_lo, s0
	s_cbranch_execz .LBB1_4
; %bb.3:
	s_mul_i32 s6, s13, s12
	v_mul_lo_u32 v0, v0, s12
	v_mul_lo_u32 v1, v1, s6
	s_load_dwordx4 s[0:3], s[4:5], 0x0
	s_ashr_i32 s13, s12, 31
	s_ashr_i32 s7, s6, 31
	s_lshl_b64 s[4:5], s[12:13], 2
	v_add3_u32 v0, v0, v3, v1
	v_ashrrev_i32_e32 v1, 31, v0
	v_sub_co_u32 v5, vcc_lo, v0, s12
	v_lshlrev_b64 v[3:4], 2, v[0:1]
	v_subrev_co_ci_u32_e64 v6, null, s13, v1, vcc_lo
	v_sub_co_u32 v0, vcc_lo, v0, s6
	v_subrev_co_ci_u32_e64 v1, null, s7, v1, vcc_lo
	s_waitcnt lgkmcnt(0)
	v_add_co_u32 v7, vcc_lo, s2, v3
	v_lshlrev_b64 v[5:6], 2, v[5:6]
	v_add_co_ci_u32_e64 v8, null, s3, v4, vcc_lo
	v_lshlrev_b64 v[9:10], 2, v[0:1]
	global_load_dwordx3 v[0:2], v[7:8], off offset:-4
	v_add_co_u32 v5, vcc_lo, s2, v5
	v_add_co_ci_u32_e64 v6, null, s3, v6, vcc_lo
	v_add_co_u32 v11, vcc_lo, v7, s4
	v_add_co_ci_u32_e64 v12, null, s5, v8, vcc_lo
	;; [unrolled: 2-line block ×3, first 2 shown]
	s_lshl_b64 s[2:3], s[6:7], 2
	v_add_co_u32 v7, vcc_lo, v7, s2
	v_add_co_ci_u32_e64 v8, null, s3, v8, vcc_lo
	s_clause 0x3
	global_load_dword v5, v[5:6], off
	global_load_dword v6, v[11:12], off
	;; [unrolled: 1-line block ×4, first 2 shown]
	s_waitcnt vmcnt(4)
	v_add_f32_e32 v0, v0, v2
	v_mul_f32_e32 v2, s15, v0
	v_fmac_f32_e32 v2, s18, v1
	s_waitcnt vmcnt(2)
	v_add_f32_e32 v0, v5, v6
	s_waitcnt vmcnt(0)
	v_add_f32_e32 v1, v9, v7
	v_fmac_f32_e32 v2, s16, v0
	v_add_co_u32 v0, vcc_lo, s0, v3
	v_fmac_f32_e32 v2, s17, v1
	v_add_co_ci_u32_e64 v1, null, s1, v4, vcc_lo
	global_store_dword v[0:1], v2, off
.LBB1_4:
	s_endpgm
	.section	.rodata,"a",@progbits
	.p2align	6, 0x0
	.amdhsa_kernel _Z16laplacian_kernelIfEvPT_PKS0_iiiS0_S0_S0_S0_
		.amdhsa_group_segment_fixed_size 0
		.amdhsa_private_segment_fixed_size 0
		.amdhsa_kernarg_size 304
		.amdhsa_user_sgpr_count 6
		.amdhsa_user_sgpr_private_segment_buffer 1
		.amdhsa_user_sgpr_dispatch_ptr 0
		.amdhsa_user_sgpr_queue_ptr 0
		.amdhsa_user_sgpr_kernarg_segment_ptr 1
		.amdhsa_user_sgpr_dispatch_id 0
		.amdhsa_user_sgpr_flat_scratch_init 0
		.amdhsa_user_sgpr_private_segment_size 0
		.amdhsa_wavefront_size32 1
		.amdhsa_uses_dynamic_stack 0
		.amdhsa_system_sgpr_private_segment_wavefront_offset 0
		.amdhsa_system_sgpr_workgroup_id_x 1
		.amdhsa_system_sgpr_workgroup_id_y 1
		.amdhsa_system_sgpr_workgroup_id_z 1
		.amdhsa_system_sgpr_workgroup_info 0
		.amdhsa_system_vgpr_workitem_id 2
		.amdhsa_next_free_vgpr 13
		.amdhsa_next_free_sgpr 20
		.amdhsa_reserve_vcc 1
		.amdhsa_reserve_flat_scratch 0
		.amdhsa_float_round_mode_32 0
		.amdhsa_float_round_mode_16_64 0
		.amdhsa_float_denorm_mode_32 3
		.amdhsa_float_denorm_mode_16_64 3
		.amdhsa_dx10_clamp 1
		.amdhsa_ieee_mode 1
		.amdhsa_fp16_overflow 0
		.amdhsa_workgroup_processor_mode 1
		.amdhsa_memory_ordered 1
		.amdhsa_forward_progress 1
		.amdhsa_shared_vgpr_count 0
		.amdhsa_exception_fp_ieee_invalid_op 0
		.amdhsa_exception_fp_denorm_src 0
		.amdhsa_exception_fp_ieee_div_zero 0
		.amdhsa_exception_fp_ieee_overflow 0
		.amdhsa_exception_fp_ieee_underflow 0
		.amdhsa_exception_fp_ieee_inexact 0
		.amdhsa_exception_int_div_zero 0
	.end_amdhsa_kernel
	.section	.text._Z16laplacian_kernelIfEvPT_PKS0_iiiS0_S0_S0_S0_,"axG",@progbits,_Z16laplacian_kernelIfEvPT_PKS0_iiiS0_S0_S0_S0_,comdat
.Lfunc_end1:
	.size	_Z16laplacian_kernelIfEvPT_PKS0_iiiS0_S0_S0_S0_, .Lfunc_end1-_Z16laplacian_kernelIfEvPT_PKS0_iiiS0_S0_S0_S0_
                                        ; -- End function
	.set _Z16laplacian_kernelIfEvPT_PKS0_iiiS0_S0_S0_S0_.num_vgpr, 13
	.set _Z16laplacian_kernelIfEvPT_PKS0_iiiS0_S0_S0_S0_.num_agpr, 0
	.set _Z16laplacian_kernelIfEvPT_PKS0_iiiS0_S0_S0_S0_.numbered_sgpr, 20
	.set _Z16laplacian_kernelIfEvPT_PKS0_iiiS0_S0_S0_S0_.num_named_barrier, 0
	.set _Z16laplacian_kernelIfEvPT_PKS0_iiiS0_S0_S0_S0_.private_seg_size, 0
	.set _Z16laplacian_kernelIfEvPT_PKS0_iiiS0_S0_S0_S0_.uses_vcc, 1
	.set _Z16laplacian_kernelIfEvPT_PKS0_iiiS0_S0_S0_S0_.uses_flat_scratch, 0
	.set _Z16laplacian_kernelIfEvPT_PKS0_iiiS0_S0_S0_S0_.has_dyn_sized_stack, 0
	.set _Z16laplacian_kernelIfEvPT_PKS0_iiiS0_S0_S0_S0_.has_recursion, 0
	.set _Z16laplacian_kernelIfEvPT_PKS0_iiiS0_S0_S0_S0_.has_indirect_call, 0
	.section	.AMDGPU.csdata,"",@progbits
; Kernel info:
; codeLenInByte = 488
; TotalNumSgprs: 22
; NumVgprs: 13
; ScratchSize: 0
; MemoryBound: 0
; FloatMode: 240
; IeeeMode: 1
; LDSByteSize: 0 bytes/workgroup (compile time only)
; SGPRBlocks: 0
; VGPRBlocks: 1
; NumSGPRsForWavesPerEU: 22
; NumVGPRsForWavesPerEU: 13
; Occupancy: 16
; WaveLimiterHint : 0
; COMPUTE_PGM_RSRC2:SCRATCH_EN: 0
; COMPUTE_PGM_RSRC2:USER_SGPR: 6
; COMPUTE_PGM_RSRC2:TRAP_HANDLER: 0
; COMPUTE_PGM_RSRC2:TGID_X_EN: 1
; COMPUTE_PGM_RSRC2:TGID_Y_EN: 1
; COMPUTE_PGM_RSRC2:TGID_Z_EN: 1
; COMPUTE_PGM_RSRC2:TIDIG_COMP_CNT: 2
	.section	.text._Z12check_kernelIfEvPiPKT_iiiS1_S1_S1_d,"axG",@progbits,_Z12check_kernelIfEvPiPKT_iiiS1_S1_S1_d,comdat
	.protected	_Z12check_kernelIfEvPiPKT_iiiS1_S1_S1_d ; -- Begin function _Z12check_kernelIfEvPiPKT_iiiS1_S1_S1_d
	.globl	_Z12check_kernelIfEvPiPKT_iiiS1_S1_S1_d
	.p2align	8
	.type	_Z12check_kernelIfEvPiPKT_iiiS1_S1_S1_d,@function
_Z12check_kernelIfEvPiPKT_iiiS1_S1_S1_d: ; @_Z12check_kernelIfEvPiPKT_iiiS1_S1_S1_d
; %bb.0:
	s_load_dword s0, s[4:5], 0x3c
	s_waitcnt lgkmcnt(0)
	s_and_b32 s1, s0, 0xffff
	v_mad_u64_u32 v[3:4], null, s6, s1, v[0:1]
	s_mov_b32 s1, exec_lo
	v_cmpx_ne_u32_e32 0, v3
	s_cbranch_execz .LBB2_6
; %bb.1:
	s_clause 0x1
	s_load_dwordx4 s[12:15], s[4:5], 0x10
	s_load_dword s1, s[4:5], 0x40
	s_lshr_b32 s0, s0, 16
	v_mad_u64_u32 v[0:1], null, s7, s0, v[1:2]
	s_waitcnt lgkmcnt(0)
	s_add_i32 s0, s12, -1
	s_and_b32 s1, s1, 0xffff
	v_cmp_gt_i32_e32 vcc_lo, s0, v3
	v_cmp_ne_u32_e64 s0, 0, v0
	s_and_b32 s0, vcc_lo, s0
	s_and_b32 exec_lo, exec_lo, s0
	s_cbranch_execz .LBB2_6
; %bb.2:
	s_and_b32 s0, s1, 0xffff
	s_add_i32 s1, s14, -1
	v_mad_u64_u32 v[1:2], null, s8, s0, v[2:3]
	s_add_i32 s0, s13, -1
	v_cmp_gt_i32_e32 vcc_lo, s0, v0
	v_cmp_gt_i32_e64 s0, s1, v1
	v_cmp_ne_u32_e64 s1, 0, v1
	s_and_b32 s0, vcc_lo, s0
	s_and_b32 s0, s0, s1
	s_and_b32 exec_lo, exec_lo, s0
	s_cbranch_execz .LBB2_6
; %bb.3:
	v_mad_u64_u32 v[0:1], null, v1, s13, v[0:1]
	s_clause 0x1
	s_load_dwordx4 s[0:3], s[4:5], 0x0
	s_load_dwordx2 s[4:5], s[4:5], 0x28
	v_mad_u64_u32 v[0:1], null, v0, s12, v[3:4]
	v_ashrrev_i32_e32 v1, 31, v0
	v_lshlrev_b64 v[0:1], 2, v[0:1]
	s_waitcnt lgkmcnt(0)
	v_add_co_u32 v0, vcc_lo, s2, v0
	v_add_co_ci_u32_e64 v1, null, s3, v1, vcc_lo
	global_load_dword v0, v[0:1], off
	s_waitcnt vmcnt(0)
	v_add_f32_e32 v0, 0xc0400000, v0
	v_and_b32_e32 v1, 0x7fffffff, v0
	v_div_scale_f32 v2, null, 0x40400000, 0x40400000, v1
	v_div_scale_f32 v1, vcc_lo, v1, 0x40400000, v1
	v_rcp_f32_e32 v3, v2
	v_fma_f32 v4, -v2, v3, 1.0
	v_fmac_f32_e32 v3, v4, v3
	v_mul_f32_e32 v4, v1, v3
	v_fma_f32 v5, -v2, v4, v1
	v_fmac_f32_e32 v4, v5, v3
	v_fma_f32 v1, -v2, v4, v1
	v_div_fmas_f32 v1, v1, v3, v4
	v_div_fixup_f32 v0, v1, 0x40400000, |v0|
	v_cvt_f64_f32_e32 v[0:1], v0
	v_cmp_lt_f64_e32 vcc_lo, s[4:5], v[0:1]
	s_and_b32 exec_lo, exec_lo, vcc_lo
	s_cbranch_execz .LBB2_6
; %bb.4:
	s_mov_b32 s2, exec_lo
	v_mbcnt_lo_u32_b32 v0, s2, 0
	v_cmp_eq_u32_e32 vcc_lo, 0, v0
	s_and_b32 s3, exec_lo, vcc_lo
	s_mov_b32 exec_lo, s3
	s_cbranch_execz .LBB2_6
; %bb.5:
	s_bcnt1_i32_b32 s2, s2
	v_mov_b32_e32 v0, 0
	v_mov_b32_e32 v1, s2
	global_atomic_add v0, v1, s[0:1]
.LBB2_6:
	s_endpgm
	.section	.rodata,"a",@progbits
	.p2align	6, 0x0
	.amdhsa_kernel _Z12check_kernelIfEvPiPKT_iiiS1_S1_S1_d
		.amdhsa_group_segment_fixed_size 0
		.amdhsa_private_segment_fixed_size 0
		.amdhsa_kernarg_size 304
		.amdhsa_user_sgpr_count 6
		.amdhsa_user_sgpr_private_segment_buffer 1
		.amdhsa_user_sgpr_dispatch_ptr 0
		.amdhsa_user_sgpr_queue_ptr 0
		.amdhsa_user_sgpr_kernarg_segment_ptr 1
		.amdhsa_user_sgpr_dispatch_id 0
		.amdhsa_user_sgpr_flat_scratch_init 0
		.amdhsa_user_sgpr_private_segment_size 0
		.amdhsa_wavefront_size32 1
		.amdhsa_uses_dynamic_stack 0
		.amdhsa_system_sgpr_private_segment_wavefront_offset 0
		.amdhsa_system_sgpr_workgroup_id_x 1
		.amdhsa_system_sgpr_workgroup_id_y 1
		.amdhsa_system_sgpr_workgroup_id_z 1
		.amdhsa_system_sgpr_workgroup_info 0
		.amdhsa_system_vgpr_workitem_id 2
		.amdhsa_next_free_vgpr 6
		.amdhsa_next_free_sgpr 16
		.amdhsa_reserve_vcc 1
		.amdhsa_reserve_flat_scratch 0
		.amdhsa_float_round_mode_32 0
		.amdhsa_float_round_mode_16_64 0
		.amdhsa_float_denorm_mode_32 3
		.amdhsa_float_denorm_mode_16_64 3
		.amdhsa_dx10_clamp 1
		.amdhsa_ieee_mode 1
		.amdhsa_fp16_overflow 0
		.amdhsa_workgroup_processor_mode 1
		.amdhsa_memory_ordered 1
		.amdhsa_forward_progress 1
		.amdhsa_shared_vgpr_count 0
		.amdhsa_exception_fp_ieee_invalid_op 0
		.amdhsa_exception_fp_denorm_src 0
		.amdhsa_exception_fp_ieee_div_zero 0
		.amdhsa_exception_fp_ieee_overflow 0
		.amdhsa_exception_fp_ieee_underflow 0
		.amdhsa_exception_fp_ieee_inexact 0
		.amdhsa_exception_int_div_zero 0
	.end_amdhsa_kernel
	.section	.text._Z12check_kernelIfEvPiPKT_iiiS1_S1_S1_d,"axG",@progbits,_Z12check_kernelIfEvPiPKT_iiiS1_S1_S1_d,comdat
.Lfunc_end2:
	.size	_Z12check_kernelIfEvPiPKT_iiiS1_S1_S1_d, .Lfunc_end2-_Z12check_kernelIfEvPiPKT_iiiS1_S1_S1_d
                                        ; -- End function
	.set _Z12check_kernelIfEvPiPKT_iiiS1_S1_S1_d.num_vgpr, 6
	.set _Z12check_kernelIfEvPiPKT_iiiS1_S1_S1_d.num_agpr, 0
	.set _Z12check_kernelIfEvPiPKT_iiiS1_S1_S1_d.numbered_sgpr, 16
	.set _Z12check_kernelIfEvPiPKT_iiiS1_S1_S1_d.num_named_barrier, 0
	.set _Z12check_kernelIfEvPiPKT_iiiS1_S1_S1_d.private_seg_size, 0
	.set _Z12check_kernelIfEvPiPKT_iiiS1_S1_S1_d.uses_vcc, 1
	.set _Z12check_kernelIfEvPiPKT_iiiS1_S1_S1_d.uses_flat_scratch, 0
	.set _Z12check_kernelIfEvPiPKT_iiiS1_S1_S1_d.has_dyn_sized_stack, 0
	.set _Z12check_kernelIfEvPiPKT_iiiS1_S1_S1_d.has_recursion, 0
	.set _Z12check_kernelIfEvPiPKT_iiiS1_S1_S1_d.has_indirect_call, 0
	.section	.AMDGPU.csdata,"",@progbits
; Kernel info:
; codeLenInByte = 420
; TotalNumSgprs: 18
; NumVgprs: 6
; ScratchSize: 0
; MemoryBound: 0
; FloatMode: 240
; IeeeMode: 1
; LDSByteSize: 0 bytes/workgroup (compile time only)
; SGPRBlocks: 0
; VGPRBlocks: 0
; NumSGPRsForWavesPerEU: 18
; NumVGPRsForWavesPerEU: 6
; Occupancy: 16
; WaveLimiterHint : 0
; COMPUTE_PGM_RSRC2:SCRATCH_EN: 0
; COMPUTE_PGM_RSRC2:USER_SGPR: 6
; COMPUTE_PGM_RSRC2:TRAP_HANDLER: 0
; COMPUTE_PGM_RSRC2:TGID_X_EN: 1
; COMPUTE_PGM_RSRC2:TGID_Y_EN: 1
; COMPUTE_PGM_RSRC2:TGID_Z_EN: 1
; COMPUTE_PGM_RSRC2:TIDIG_COMP_CNT: 2
	.section	.AMDGPU.gpr_maximums,"",@progbits
	.set amdgpu.max_num_vgpr, 0
	.set amdgpu.max_num_agpr, 0
	.set amdgpu.max_num_sgpr, 0
	.section	.AMDGPU.csdata,"",@progbits
	.type	__hip_cuid_7a902d1e9eff6227,@object ; @__hip_cuid_7a902d1e9eff6227
	.section	.bss,"aw",@nobits
	.globl	__hip_cuid_7a902d1e9eff6227
__hip_cuid_7a902d1e9eff6227:
	.byte	0                               ; 0x0
	.size	__hip_cuid_7a902d1e9eff6227, 1

	.ident	"AMD clang version 22.0.0git (https://github.com/RadeonOpenCompute/llvm-project roc-7.2.4 26084 f58b06dce1f9c15707c5f808fd002e18c2accf7e)"
	.section	".note.GNU-stack","",@progbits
	.addrsig
	.addrsig_sym __hip_cuid_7a902d1e9eff6227
	.amdgpu_metadata
---
amdhsa.kernels:
  - .args:
      - .address_space:  global
        .offset:         0
        .size:           8
        .value_kind:     global_buffer
      - .offset:         8
        .size:           4
        .value_kind:     by_value
      - .offset:         12
        .size:           4
        .value_kind:     by_value
      - .offset:         16
        .size:           4
        .value_kind:     by_value
      - .offset:         20
        .size:           4
        .value_kind:     by_value
      - .offset:         24
        .size:           4
        .value_kind:     by_value
      - .offset:         28
        .size:           4
        .value_kind:     by_value
      - .offset:         32
        .size:           4
        .value_kind:     hidden_block_count_x
      - .offset:         36
        .size:           4
        .value_kind:     hidden_block_count_y
      - .offset:         40
        .size:           4
        .value_kind:     hidden_block_count_z
      - .offset:         44
        .size:           2
        .value_kind:     hidden_group_size_x
      - .offset:         46
        .size:           2
        .value_kind:     hidden_group_size_y
      - .offset:         48
        .size:           2
        .value_kind:     hidden_group_size_z
      - .offset:         50
        .size:           2
        .value_kind:     hidden_remainder_x
      - .offset:         52
        .size:           2
        .value_kind:     hidden_remainder_y
      - .offset:         54
        .size:           2
        .value_kind:     hidden_remainder_z
      - .offset:         72
        .size:           8
        .value_kind:     hidden_global_offset_x
      - .offset:         80
        .size:           8
        .value_kind:     hidden_global_offset_y
      - .offset:         88
        .size:           8
        .value_kind:     hidden_global_offset_z
      - .offset:         96
        .size:           2
        .value_kind:     hidden_grid_dims
    .group_segment_fixed_size: 0
    .kernarg_segment_align: 8
    .kernarg_segment_size: 288
    .language:       OpenCL C
    .language_version:
      - 2
      - 0
    .max_flat_workgroup_size: 1024
    .name:           _Z20test_function_kernelIfEvPT_iiiS0_S0_S0_
    .private_segment_fixed_size: 0
    .sgpr_count:     18
    .sgpr_spill_count: 0
    .symbol:         _Z20test_function_kernelIfEvPT_iiiS0_S0_S0_.kd
    .uniform_work_group_size: 1
    .uses_dynamic_stack: false
    .vgpr_count:     8
    .vgpr_spill_count: 0
    .wavefront_size: 32
    .workgroup_processor_mode: 1
  - .args:
      - .address_space:  global
        .offset:         0
        .size:           8
        .value_kind:     global_buffer
      - .address_space:  global
        .offset:         8
        .size:           8
        .value_kind:     global_buffer
      - .offset:         16
        .size:           4
        .value_kind:     by_value
      - .offset:         20
        .size:           4
        .value_kind:     by_value
      - .offset:         24
        .size:           4
        .value_kind:     by_value
      - .offset:         28
        .size:           4
        .value_kind:     by_value
      - .offset:         32
        .size:           4
        .value_kind:     by_value
      - .offset:         36
        .size:           4
        .value_kind:     by_value
      - .offset:         40
        .size:           4
        .value_kind:     by_value
      - .offset:         48
        .size:           4
        .value_kind:     hidden_block_count_x
      - .offset:         52
        .size:           4
        .value_kind:     hidden_block_count_y
      - .offset:         56
        .size:           4
        .value_kind:     hidden_block_count_z
      - .offset:         60
        .size:           2
        .value_kind:     hidden_group_size_x
      - .offset:         62
        .size:           2
        .value_kind:     hidden_group_size_y
      - .offset:         64
        .size:           2
        .value_kind:     hidden_group_size_z
      - .offset:         66
        .size:           2
        .value_kind:     hidden_remainder_x
      - .offset:         68
        .size:           2
        .value_kind:     hidden_remainder_y
      - .offset:         70
        .size:           2
        .value_kind:     hidden_remainder_z
      - .offset:         88
        .size:           8
        .value_kind:     hidden_global_offset_x
      - .offset:         96
        .size:           8
        .value_kind:     hidden_global_offset_y
      - .offset:         104
        .size:           8
        .value_kind:     hidden_global_offset_z
      - .offset:         112
        .size:           2
        .value_kind:     hidden_grid_dims
    .group_segment_fixed_size: 0
    .kernarg_segment_align: 8
    .kernarg_segment_size: 304
    .language:       OpenCL C
    .language_version:
      - 2
      - 0
    .max_flat_workgroup_size: 1024
    .name:           _Z16laplacian_kernelIfEvPT_PKS0_iiiS0_S0_S0_S0_
    .private_segment_fixed_size: 0
    .sgpr_count:     22
    .sgpr_spill_count: 0
    .symbol:         _Z16laplacian_kernelIfEvPT_PKS0_iiiS0_S0_S0_S0_.kd
    .uniform_work_group_size: 1
    .uses_dynamic_stack: false
    .vgpr_count:     13
    .vgpr_spill_count: 0
    .wavefront_size: 32
    .workgroup_processor_mode: 1
  - .args:
      - .address_space:  global
        .offset:         0
        .size:           8
        .value_kind:     global_buffer
      - .address_space:  global
        .offset:         8
        .size:           8
        .value_kind:     global_buffer
      - .offset:         16
        .size:           4
        .value_kind:     by_value
      - .offset:         20
        .size:           4
        .value_kind:     by_value
      - .offset:         24
        .size:           4
        .value_kind:     by_value
      - .offset:         28
        .size:           4
        .value_kind:     by_value
      - .offset:         32
        .size:           4
        .value_kind:     by_value
      - .offset:         36
        .size:           4
        .value_kind:     by_value
      - .offset:         40
        .size:           8
        .value_kind:     by_value
      - .offset:         48
        .size:           4
        .value_kind:     hidden_block_count_x
      - .offset:         52
        .size:           4
        .value_kind:     hidden_block_count_y
      - .offset:         56
        .size:           4
        .value_kind:     hidden_block_count_z
      - .offset:         60
        .size:           2
        .value_kind:     hidden_group_size_x
      - .offset:         62
        .size:           2
        .value_kind:     hidden_group_size_y
      - .offset:         64
        .size:           2
        .value_kind:     hidden_group_size_z
      - .offset:         66
        .size:           2
        .value_kind:     hidden_remainder_x
      - .offset:         68
        .size:           2
        .value_kind:     hidden_remainder_y
      - .offset:         70
        .size:           2
        .value_kind:     hidden_remainder_z
      - .offset:         88
        .size:           8
        .value_kind:     hidden_global_offset_x
      - .offset:         96
        .size:           8
        .value_kind:     hidden_global_offset_y
      - .offset:         104
        .size:           8
        .value_kind:     hidden_global_offset_z
      - .offset:         112
        .size:           2
        .value_kind:     hidden_grid_dims
    .group_segment_fixed_size: 0
    .kernarg_segment_align: 8
    .kernarg_segment_size: 304
    .language:       OpenCL C
    .language_version:
      - 2
      - 0
    .max_flat_workgroup_size: 1024
    .name:           _Z12check_kernelIfEvPiPKT_iiiS1_S1_S1_d
    .private_segment_fixed_size: 0
    .sgpr_count:     18
    .sgpr_spill_count: 0
    .symbol:         _Z12check_kernelIfEvPiPKT_iiiS1_S1_S1_d.kd
    .uniform_work_group_size: 1
    .uses_dynamic_stack: false
    .vgpr_count:     6
    .vgpr_spill_count: 0
    .wavefront_size: 32
    .workgroup_processor_mode: 1
amdhsa.target:   amdgcn-amd-amdhsa--gfx1030
amdhsa.version:
  - 1
  - 2
...

	.end_amdgpu_metadata
